;; amdgpu-corpus repo=ROCm/rocFFT kind=compiled arch=gfx906 opt=O3
	.text
	.amdgcn_target "amdgcn-amd-amdhsa--gfx906"
	.amdhsa_code_object_version 6
	.protected	fft_rtc_back_len17_factors_17_wgs_120_tpt_1_sp_ip_CI_sbrr_dirReg ; -- Begin function fft_rtc_back_len17_factors_17_wgs_120_tpt_1_sp_ip_CI_sbrr_dirReg
	.globl	fft_rtc_back_len17_factors_17_wgs_120_tpt_1_sp_ip_CI_sbrr_dirReg
	.p2align	8
	.type	fft_rtc_back_len17_factors_17_wgs_120_tpt_1_sp_ip_CI_sbrr_dirReg,@function
fft_rtc_back_len17_factors_17_wgs_120_tpt_1_sp_ip_CI_sbrr_dirReg: ; @fft_rtc_back_len17_factors_17_wgs_120_tpt_1_sp_ip_CI_sbrr_dirReg
; %bb.0:
	s_load_dwordx2 s[10:11], s[4:5], 0x18
	s_load_dwordx2 s[8:9], s[4:5], 0x50
	;; [unrolled: 1-line block ×3, first 2 shown]
	s_mulk_i32 s6, 0x78
	v_add_u32_e32 v4, s6, v0
	s_waitcnt lgkmcnt(0)
	s_load_dwordx2 s[2:3], s[10:11], 0x0
	v_mov_b32_e32 v2, 0
	v_cmp_lt_u64_e64 s[0:1], s[12:13], 2
	v_mov_b32_e32 v0, 0
	v_mov_b32_e32 v5, v2
	s_and_b64 vcc, exec, s[0:1]
	v_mov_b32_e32 v1, 0
	s_cbranch_vccnz .LBB0_8
; %bb.1:
	s_load_dwordx2 s[0:1], s[4:5], 0x10
	s_add_u32 s6, s10, 8
	s_addc_u32 s7, s11, 0
	v_mov_b32_e32 v0, 0
	v_mov_b32_e32 v1, 0
	s_waitcnt lgkmcnt(0)
	s_add_u32 s14, s0, 8
	s_addc_u32 s15, s1, 0
	s_mov_b64 s[16:17], 1
.LBB0_2:                                ; =>This Inner Loop Header: Depth=1
	s_load_dwordx2 s[18:19], s[14:15], 0x0
                                        ; implicit-def: $vgpr6_vgpr7
	s_waitcnt lgkmcnt(0)
	v_or_b32_e32 v3, s19, v5
	v_cmp_ne_u64_e32 vcc, 0, v[2:3]
	s_and_saveexec_b64 s[0:1], vcc
	s_xor_b64 s[20:21], exec, s[0:1]
	s_cbranch_execz .LBB0_4
; %bb.3:                                ;   in Loop: Header=BB0_2 Depth=1
	v_cvt_f32_u32_e32 v3, s18
	v_cvt_f32_u32_e32 v6, s19
	s_sub_u32 s0, 0, s18
	s_subb_u32 s1, 0, s19
	v_mac_f32_e32 v3, 0x4f800000, v6
	v_rcp_f32_e32 v3, v3
	v_mul_f32_e32 v3, 0x5f7ffffc, v3
	v_mul_f32_e32 v6, 0x2f800000, v3
	v_trunc_f32_e32 v6, v6
	v_mac_f32_e32 v3, 0xcf800000, v6
	v_cvt_u32_f32_e32 v6, v6
	v_cvt_u32_f32_e32 v3, v3
	v_mul_lo_u32 v7, s0, v6
	v_mul_hi_u32 v8, s0, v3
	v_mul_lo_u32 v10, s1, v3
	v_mul_lo_u32 v9, s0, v3
	v_add_u32_e32 v7, v8, v7
	v_add_u32_e32 v7, v7, v10
	v_mul_hi_u32 v8, v3, v9
	v_mul_lo_u32 v10, v3, v7
	v_mul_hi_u32 v12, v3, v7
	v_mul_hi_u32 v11, v6, v9
	v_mul_lo_u32 v9, v6, v9
	v_mul_hi_u32 v13, v6, v7
	v_add_co_u32_e32 v8, vcc, v8, v10
	v_addc_co_u32_e32 v10, vcc, 0, v12, vcc
	v_mul_lo_u32 v7, v6, v7
	v_add_co_u32_e32 v8, vcc, v8, v9
	v_addc_co_u32_e32 v8, vcc, v10, v11, vcc
	v_addc_co_u32_e32 v9, vcc, 0, v13, vcc
	v_add_co_u32_e32 v7, vcc, v8, v7
	v_addc_co_u32_e32 v8, vcc, 0, v9, vcc
	v_add_co_u32_e32 v3, vcc, v3, v7
	v_addc_co_u32_e32 v6, vcc, v6, v8, vcc
	v_mul_lo_u32 v7, s0, v6
	v_mul_hi_u32 v8, s0, v3
	v_mul_lo_u32 v9, s1, v3
	v_mul_lo_u32 v10, s0, v3
	v_add_u32_e32 v7, v8, v7
	v_add_u32_e32 v7, v7, v9
	v_mul_lo_u32 v11, v3, v7
	v_mul_hi_u32 v12, v3, v10
	v_mul_hi_u32 v13, v3, v7
	;; [unrolled: 1-line block ×3, first 2 shown]
	v_mul_lo_u32 v10, v6, v10
	v_mul_hi_u32 v8, v6, v7
	v_add_co_u32_e32 v11, vcc, v12, v11
	v_addc_co_u32_e32 v12, vcc, 0, v13, vcc
	v_mul_lo_u32 v7, v6, v7
	v_add_co_u32_e32 v10, vcc, v11, v10
	v_addc_co_u32_e32 v9, vcc, v12, v9, vcc
	v_addc_co_u32_e32 v8, vcc, 0, v8, vcc
	v_add_co_u32_e32 v7, vcc, v9, v7
	v_addc_co_u32_e32 v8, vcc, 0, v8, vcc
	v_add_co_u32_e32 v3, vcc, v3, v7
	v_addc_co_u32_e32 v8, vcc, v6, v8, vcc
	v_mad_u64_u32 v[6:7], s[0:1], v4, v8, 0
	v_mul_hi_u32 v9, v4, v3
	v_add_co_u32_e32 v10, vcc, v9, v6
	v_addc_co_u32_e32 v11, vcc, 0, v7, vcc
	v_mad_u64_u32 v[6:7], s[0:1], v5, v3, 0
	v_mad_u64_u32 v[8:9], s[0:1], v5, v8, 0
	v_add_co_u32_e32 v3, vcc, v10, v6
	v_addc_co_u32_e32 v3, vcc, v11, v7, vcc
	v_addc_co_u32_e32 v6, vcc, 0, v9, vcc
	v_add_co_u32_e32 v3, vcc, v3, v8
	v_addc_co_u32_e32 v8, vcc, 0, v6, vcc
	v_mul_lo_u32 v9, s19, v3
	v_mul_lo_u32 v10, s18, v8
	v_mad_u64_u32 v[6:7], s[0:1], s18, v3, 0
	v_add3_u32 v7, v7, v10, v9
	v_sub_u32_e32 v9, v5, v7
	v_mov_b32_e32 v10, s19
	v_sub_co_u32_e32 v6, vcc, v4, v6
	v_subb_co_u32_e64 v9, s[0:1], v9, v10, vcc
	v_subrev_co_u32_e64 v10, s[0:1], s18, v6
	v_subbrev_co_u32_e64 v9, s[0:1], 0, v9, s[0:1]
	v_cmp_le_u32_e64 s[0:1], s19, v9
	v_cndmask_b32_e64 v11, 0, -1, s[0:1]
	v_cmp_le_u32_e64 s[0:1], s18, v10
	v_cndmask_b32_e64 v10, 0, -1, s[0:1]
	v_cmp_eq_u32_e64 s[0:1], s19, v9
	v_cndmask_b32_e64 v9, v11, v10, s[0:1]
	v_add_co_u32_e64 v10, s[0:1], 2, v3
	v_addc_co_u32_e64 v11, s[0:1], 0, v8, s[0:1]
	v_add_co_u32_e64 v12, s[0:1], 1, v3
	v_addc_co_u32_e64 v13, s[0:1], 0, v8, s[0:1]
	v_subb_co_u32_e32 v7, vcc, v5, v7, vcc
	v_cmp_ne_u32_e64 s[0:1], 0, v9
	v_cmp_le_u32_e32 vcc, s19, v7
	v_cndmask_b32_e64 v9, v13, v11, s[0:1]
	v_cndmask_b32_e64 v11, 0, -1, vcc
	v_cmp_le_u32_e32 vcc, s18, v6
	v_cndmask_b32_e64 v6, 0, -1, vcc
	v_cmp_eq_u32_e32 vcc, s19, v7
	v_cndmask_b32_e32 v6, v11, v6, vcc
	v_cmp_ne_u32_e32 vcc, 0, v6
	v_cndmask_b32_e64 v6, v12, v10, s[0:1]
	v_cndmask_b32_e32 v7, v8, v9, vcc
	v_cndmask_b32_e32 v6, v3, v6, vcc
.LBB0_4:                                ;   in Loop: Header=BB0_2 Depth=1
	s_andn2_saveexec_b64 s[0:1], s[20:21]
	s_cbranch_execz .LBB0_6
; %bb.5:                                ;   in Loop: Header=BB0_2 Depth=1
	v_cvt_f32_u32_e32 v3, s18
	s_sub_i32 s20, 0, s18
	v_rcp_iflag_f32_e32 v3, v3
	v_mul_f32_e32 v3, 0x4f7ffffe, v3
	v_cvt_u32_f32_e32 v3, v3
	v_mul_lo_u32 v6, s20, v3
	v_mul_hi_u32 v6, v3, v6
	v_add_u32_e32 v3, v3, v6
	v_mul_hi_u32 v3, v4, v3
	v_mul_lo_u32 v6, v3, s18
	v_add_u32_e32 v7, 1, v3
	v_sub_u32_e32 v6, v4, v6
	v_subrev_u32_e32 v8, s18, v6
	v_cmp_le_u32_e32 vcc, s18, v6
	v_cndmask_b32_e32 v6, v6, v8, vcc
	v_cndmask_b32_e32 v3, v3, v7, vcc
	v_add_u32_e32 v7, 1, v3
	v_cmp_le_u32_e32 vcc, s18, v6
	v_cndmask_b32_e32 v6, v3, v7, vcc
	v_mov_b32_e32 v7, v2
.LBB0_6:                                ;   in Loop: Header=BB0_2 Depth=1
	s_or_b64 exec, exec, s[0:1]
	v_mul_lo_u32 v3, v7, s18
	v_mul_lo_u32 v10, v6, s19
	v_mad_u64_u32 v[8:9], s[0:1], v6, s18, 0
	s_load_dwordx2 s[0:1], s[6:7], 0x0
	s_add_u32 s16, s16, 1
	v_add3_u32 v3, v9, v10, v3
	v_sub_co_u32_e32 v4, vcc, v4, v8
	v_subb_co_u32_e32 v3, vcc, v5, v3, vcc
	s_waitcnt lgkmcnt(0)
	v_mul_lo_u32 v3, s0, v3
	v_mul_lo_u32 v5, s1, v4
	v_mad_u64_u32 v[0:1], s[0:1], s0, v4, v[0:1]
	s_addc_u32 s17, s17, 0
	s_add_u32 s6, s6, 8
	v_add3_u32 v1, v5, v1, v3
	v_mov_b32_e32 v3, s12
	v_mov_b32_e32 v4, s13
	s_addc_u32 s7, s7, 0
	v_cmp_ge_u64_e32 vcc, s[16:17], v[3:4]
	s_add_u32 s14, s14, 8
	s_addc_u32 s15, s15, 0
	s_cbranch_vccnz .LBB0_9
; %bb.7:                                ;   in Loop: Header=BB0_2 Depth=1
	v_mov_b32_e32 v4, v6
	v_mov_b32_e32 v5, v7
	s_branch .LBB0_2
.LBB0_8:
	v_mov_b32_e32 v7, v5
	v_mov_b32_e32 v6, v4
.LBB0_9:
	s_lshl_b64 s[0:1], s[12:13], 3
	s_add_u32 s0, s10, s0
	s_addc_u32 s1, s11, s1
	s_load_dwordx2 s[6:7], s[0:1], 0x0
	s_load_dwordx2 s[10:11], s[4:5], 0x20
	s_waitcnt lgkmcnt(0)
	s_mul_i32 s14, s3, 0x48
	s_mul_i32 s13, s3, 0x50
	;; [unrolled: 1-line block ×3, first 2 shown]
	v_mul_lo_u32 v4, s6, v7
	v_mul_lo_u32 v5, s7, v6
	v_mad_u64_u32 v[2:3], s[0:1], s6, v6, v[0:1]
	v_mov_b32_e32 v0, 0
	v_cmp_gt_u64_e32 vcc, s[10:11], v[6:7]
	v_add3_u32 v3, v5, v3, v4
	v_lshlrev_b64 v[2:3], 3, v[2:3]
	v_mov_b32_e32 v1, 0
	s_mul_i32 s11, s3, 0x60
	s_mul_i32 s10, s3, 0x68
	;; [unrolled: 1-line block ×4, first 2 shown]
                                        ; implicit-def: $vgpr7
                                        ; implicit-def: $vgpr9
                                        ; implicit-def: $vgpr5
                                        ; implicit-def: $vgpr11
                                        ; implicit-def: $vgpr13
                                        ; implicit-def: $vgpr17
                                        ; implicit-def: $vgpr23
                                        ; implicit-def: $vgpr21
                                        ; implicit-def: $vgpr15
                                        ; implicit-def: $vgpr19
                                        ; implicit-def: $vgpr25
                                        ; implicit-def: $vgpr27
                                        ; implicit-def: $vgpr29
                                        ; implicit-def: $vgpr31
                                        ; implicit-def: $vgpr35
                                        ; implicit-def: $vgpr33
	s_and_saveexec_b64 s[4:5], vcc
	s_cbranch_execnz .LBB0_12
; %bb.10:
	s_or_b64 exec, exec, s[4:5]
	s_and_saveexec_b64 s[0:1], vcc
	s_cbranch_execnz .LBB0_13
.LBB0_11:
	s_endpgm
.LBB0_12:
	v_mov_b32_e32 v0, s9
	v_add_co_u32_e64 v12, s[0:1], s8, v2
	v_addc_co_u32_e64 v13, s[0:1], v0, v3, s[0:1]
	s_lshl_b64 s[0:1], s[2:3], 3
	v_mad_u64_u32 v[0:1], s[16:17], s2, 24, v[12:13]
	v_mov_b32_e32 v4, s1
	v_add_co_u32_e64 v14, s[0:1], s0, v12
	v_addc_co_u32_e64 v15, s[0:1], v13, v4, s[0:1]
	s_lshl_b64 s[0:1], s[2:3], 4
	v_mov_b32_e32 v6, s1
	v_mad_u64_u32 v[4:5], s[16:17], s3, 24, v[1:2]
	v_add_co_u32_e64 v16, s[0:1], s0, v12
	v_addc_co_u32_e64 v17, s[0:1], v13, v6, s[0:1]
	v_mad_u64_u32 v[18:19], s[0:1], s2, 40, v[12:13]
	v_mov_b32_e32 v1, v4
	global_load_dwordx2 v[4:5], v[0:1], off
	v_mov_b32_e32 v0, v19
	s_lshl_b64 s[0:1], s[2:3], 5
	v_mad_u64_u32 v[0:1], s[16:17], s3, 40, v[0:1]
	v_mov_b32_e32 v9, s1
	v_add_co_u32_e64 v22, s[0:1], s0, v12
	v_addc_co_u32_e64 v23, s[0:1], v13, v9, s[0:1]
	v_mad_u64_u32 v[24:25], s[16:17], s2, 48, v[12:13]
	s_lshl_b64 s[0:1], s[2:3], 6
	v_mad_u64_u32 v[26:27], s[16:17], s2, 56, v[12:13]
	v_mov_b32_e32 v19, v0
	v_mov_b32_e32 v0, s1
	v_add_co_u32_e64 v28, s[0:1], s0, v12
	v_addc_co_u32_e64 v29, s[0:1], v13, v0, s[0:1]
	v_mov_b32_e32 v0, 0x48
	v_mad_u64_u32 v[30:31], s[0:1], s2, v0, v[12:13]
	v_mov_b32_e32 v0, 0x50
	v_mov_b32_e32 v1, v25
	v_mad_u64_u32 v[36:37], s[0:1], s2, v0, v[12:13]
	v_mad_u64_u32 v[6:7], s[16:17], s3, 48, v[1:2]
	v_mov_b32_e32 v1, v27
	s_lshl_b64 s[0:1], s[2:3], 7
	v_mad_u64_u32 v[7:8], s[16:17], s3, 56, v[1:2]
	v_mov_b32_e32 v0, 0x58
	v_mov_b32_e32 v1, s1
	v_add_co_u32_e64 v38, s[0:1], s0, v12
	v_addc_co_u32_e64 v39, s[0:1], v13, v1, s[0:1]
	v_mad_u64_u32 v[40:41], s[0:1], s2, v0, v[12:13]
	v_mov_b32_e32 v0, 0x60
	v_mad_u64_u32 v[42:43], s[0:1], s2, v0, v[12:13]
	v_mov_b32_e32 v0, 0x68
	;; [unrolled: 2-line block ×5, first 2 shown]
	v_mov_b32_e32 v27, v7
	global_load_dwordx2 v[0:1], v[12:13], off
	global_load_dwordx2 v[6:7], v[14:15], off
	;; [unrolled: 1-line block ×5, first 2 shown]
	v_add_u32_e32 v31, s14, v31
	v_add_u32_e32 v37, s13, v37
	global_load_dwordx2 v[12:13], v[18:19], off
	global_load_dwordx2 v[16:17], v[24:25], off
	;; [unrolled: 1-line block ×4, first 2 shown]
	v_add_u32_e32 v41, s12, v41
	v_add_u32_e32 v43, s11, v43
	;; [unrolled: 1-line block ×3, first 2 shown]
	global_load_dwordx2 v[34:35], v[36:37], off
	global_load_dwordx2 v[30:31], v[40:41], off
	;; [unrolled: 1-line block ×4, first 2 shown]
	v_add_u32_e32 v47, s7, v47
	v_add_u32_e32 v49, s6, v49
	global_load_dwordx2 v[24:25], v[46:47], off
	global_load_dwordx2 v[18:19], v[48:49], off
	;; [unrolled: 1-line block ×3, first 2 shown]
	s_or_b64 exec, exec, s[4:5]
	s_and_saveexec_b64 s[0:1], vcc
	s_cbranch_execz .LBB0_11
.LBB0_13:
	s_waitcnt vmcnt(14)
	v_add_f32_e32 v36, v7, v1
	s_waitcnt vmcnt(13)
	v_add_f32_e32 v36, v9, v36
	v_add_f32_e32 v36, v5, v36
	s_waitcnt vmcnt(12)
	v_add_f32_e32 v36, v11, v36
	s_waitcnt vmcnt(10)
	;; [unrolled: 2-line block ×4, first 2 shown]
	v_add_f32_e32 v36, v23, v36
	v_add_f32_e32 v39, v21, v36
	;; [unrolled: 1-line block ×10, first 2 shown]
	s_waitcnt vmcnt(7)
	v_add_f32_e32 v41, v33, v39
	v_add_f32_e32 v40, v32, v40
	;; [unrolled: 1-line block ×3, first 2 shown]
	v_sub_f32_e32 v38, v20, v32
	v_add_f32_e32 v20, v20, v32
	v_sub_f32_e32 v37, v21, v33
	s_waitcnt vmcnt(6)
	v_add_f32_e32 v32, v23, v35
	v_sub_f32_e32 v33, v23, v35
	v_add_f32_e32 v23, v35, v41
	v_add_f32_e32 v40, v34, v40
	s_waitcnt vmcnt(5)
	v_add_f32_e32 v23, v31, v23
	v_add_f32_e32 v40, v30, v40
	s_waitcnt vmcnt(4)
	;; [unrolled: 3-line block ×3, first 2 shown]
	v_add_f32_e32 v41, v27, v23
	v_add_f32_e32 v40, v26, v40
	v_sub_f32_e32 v39, v22, v34
	v_add_f32_e32 v21, v22, v34
	v_add_f32_e32 v22, v17, v31
	v_sub_f32_e32 v35, v16, v30
	v_add_f32_e32 v16, v16, v30
	v_sub_f32_e32 v34, v17, v31
	;; [unrolled: 2-line block ×6, first 2 shown]
	s_waitcnt vmcnt(2)
	v_add_f32_e32 v23, v5, v25
	v_sub_f32_e32 v27, v4, v24
	v_add_f32_e32 v11, v4, v24
	v_sub_f32_e32 v26, v5, v25
	v_add_f32_e32 v4, v25, v41
	v_add_f32_e32 v5, v24, v40
	s_waitcnt vmcnt(1)
	v_add_f32_e32 v4, v19, v4
	v_add_f32_e32 v42, v18, v5
	s_waitcnt vmcnt(0)
	v_sub_f32_e32 v41, v6, v14
	v_add_f32_e32 v24, v9, v19
	v_sub_f32_e32 v40, v8, v18
	v_add_f32_e32 v8, v8, v18
	;; [unrolled: 2-line block ×3, first 2 shown]
	v_add_f32_e32 v18, v6, v14
	v_add_f32_e32 v5, v15, v4
	;; [unrolled: 1-line block ×3, first 2 shown]
	v_mov_b32_e32 v6, s9
	v_add_co_u32_e32 v2, vcc, s8, v2
	s_mov_b32 s15, 0x3f6eb680
	v_mul_f32_e32 v14, 0xbeb8f4ab, v41
	v_sub_f32_e32 v19, v7, v15
	v_addc_co_u32_e32 v3, vcc, v6, v3, vcc
	s_mov_b32 s0, 0x3f3d2fb0
	v_fma_f32 v6, v9, s15, -v14
	v_mul_f32_e32 v15, 0xbf2c7751, v40
	v_add_f32_e32 v6, v6, v1
	v_fma_f32 v7, v24, s0, -v15
	s_mov_b32 s1, 0x3ee437d1
	v_mul_f32_e32 v42, 0xbf65296c, v27
	v_add_f32_e32 v6, v7, v6
	v_fma_f32 v7, v23, s1, -v42
	s_mov_b32 s4, 0x3dbcf732
	;; [unrolled: 4-line block ×5, first 2 shown]
	v_mul_f32_e32 v46, 0xbf06c442, v39
	v_add_f32_e32 v6, v7, v6
	v_fma_f32 v7, v32, s8, -v46
	v_mul_f32_e32 v55, 0xbeb8f4ab, v19
	v_add_f32_e32 v6, v7, v6
	v_mov_b32_e32 v7, v55
	v_mul_f32_e32 v47, 0xbf2c7751, v25
	v_fmac_f32_e32 v7, 0x3f6eb680, v18
	v_mov_b32_e32 v48, v47
	v_add_f32_e32 v7, v7, v0
	v_fmac_f32_e32 v48, 0x3f3d2fb0, v8
	v_add_f32_e32 v7, v48, v7
	v_mul_f32_e32 v48, 0xbf65296c, v26
	v_mov_b32_e32 v49, v48
	v_fmac_f32_e32 v49, 0x3ee437d1, v11
	v_add_f32_e32 v7, v49, v7
	v_mul_f32_e32 v49, 0xbf7ee86f, v28
	v_mov_b32_e32 v50, v49
	;; [unrolled: 4-line block ×3, first 2 shown]
	v_fmac_f32_e32 v51, 0xbe8c1d8e, v12
	v_mul_f32_e32 v53, 0xbf4c4adb, v34
	v_add_f32_e32 v7, v51, v7
	v_mov_b32_e32 v51, v53
	v_fmac_f32_e32 v51, 0xbf1a4643, v16
	v_mul_f32_e32 v52, 0xbf06c442, v33
	v_add_f32_e32 v7, v51, v7
	v_mov_b32_e32 v51, v52
	v_fmac_f32_e32 v51, 0xbf59a7d5, v21
	v_add_f32_e32 v56, v51, v7
	s_mov_b32 s16, 0xbf7ba420
	v_mul_f32_e32 v51, 0xbe3c28d5, v38
	v_fma_f32 v7, v36, s16, -v51
	v_mul_f32_e32 v54, 0xbe3c28d5, v37
	v_add_f32_e32 v7, v7, v6
	v_mov_b32_e32 v6, v54
	s_lshl_b64 s[18:19], s[2:3], 3
	v_fmac_f32_e32 v6, 0xbf7ba420, v20
	global_store_dwordx2 v[2:3], v[4:5], off
	v_mov_b32_e32 v5, s19
	v_add_co_u32_e32 v4, vcc, s18, v2
	v_add_f32_e32 v6, v6, v56
	v_addc_co_u32_e32 v5, vcc, v3, v5, vcc
	v_mul_f32_e32 v56, 0xbf2c7751, v41
	global_store_dwordx2 v[4:5], v[6:7], off
	v_fma_f32 v4, v9, s0, -v56
	v_mul_f32_e32 v57, 0xbf7ee86f, v40
	v_add_f32_e32 v4, v4, v1
	v_fma_f32 v5, v24, s4, -v57
	v_mul_f32_e32 v58, 0xbf4c4adb, v27
	v_add_f32_e32 v4, v5, v4
	;; [unrolled: 3-line block ×7, first 2 shown]
	v_mov_b32_e32 v5, v63
	v_mul_f32_e32 v64, 0xbf7ee86f, v25
	v_fmac_f32_e32 v5, 0x3f3d2fb0, v18
	v_mov_b32_e32 v6, v64
	v_add_f32_e32 v5, v5, v0
	v_fmac_f32_e32 v6, 0x3dbcf732, v8
	v_mul_f32_e32 v65, 0xbf4c4adb, v26
	v_add_f32_e32 v5, v6, v5
	v_mov_b32_e32 v6, v65
	v_fmac_f32_e32 v6, 0xbf1a4643, v11
	v_mul_f32_e32 v66, 0xbe3c28d5, v28
	v_add_f32_e32 v5, v6, v5
	v_mov_b32_e32 v6, v66
	;; [unrolled: 4-line block ×5, first 2 shown]
	v_fmac_f32_e32 v6, 0x3ee437d1, v21
	v_mul_f32_e32 v70, 0x3eb8f4ab, v38
	v_add_f32_e32 v6, v6, v5
	v_fma_f32 v5, v36, s15, -v70
	v_mul_f32_e32 v71, 0x3eb8f4ab, v37
	v_add_f32_e32 v5, v5, v4
	v_mov_b32_e32 v4, v71
	v_fmac_f32_e32 v4, 0x3f6eb680, v20
	s_lshl_b64 s[18:19], s[2:3], 4
	v_add_f32_e32 v4, v4, v6
	v_mov_b32_e32 v7, s19
	v_add_co_u32_e32 v6, vcc, s18, v2
	v_addc_co_u32_e32 v7, vcc, v3, v7, vcc
	v_mul_f32_e32 v78, 0xbe3c28d5, v41
	global_store_dwordx2 v[6:7], v[4:5], off
	v_fma_f32 v4, v9, s16, -v78
	v_mul_f32_e32 v79, 0x3eb8f4ab, v40
	v_add_f32_e32 v4, v4, v1
	v_fma_f32 v5, v24, s15, -v79
	v_mul_f32_e32 v80, 0xbf06c442, v27
	v_add_f32_e32 v4, v5, v4
	v_fma_f32 v5, v23, s8, -v80
	v_mul_f32_e32 v81, 0x3f2c7751, v29
	v_add_f32_e32 v4, v5, v4
	v_fma_f32 v5, v13, s0, -v81
	v_mul_f32_e32 v82, 0xbf4c4adb, v31
	v_add_f32_e32 v4, v5, v4
	v_fma_f32 v5, v17, s9, -v82
	v_mul_f32_e32 v83, 0x3f65296c, v35
	v_add_f32_e32 v4, v5, v4
	v_fma_f32 v5, v22, s1, -v83
	v_mul_f32_e32 v84, 0xbf763a35, v39
	v_add_f32_e32 v4, v5, v4
	v_fma_f32 v5, v32, s5, -v84
	v_mul_f32_e32 v85, 0xbe3c28d5, v19
	v_add_f32_e32 v4, v5, v4
	v_mov_b32_e32 v5, v85
	v_mul_f32_e32 v86, 0x3eb8f4ab, v25
	v_fmac_f32_e32 v5, 0xbf7ba420, v18
	v_mov_b32_e32 v6, v86
	v_add_f32_e32 v5, v5, v0
	v_fmac_f32_e32 v6, 0x3f6eb680, v8
	v_mul_f32_e32 v87, 0xbf06c442, v26
	v_add_f32_e32 v5, v6, v5
	v_mov_b32_e32 v6, v87
	v_fmac_f32_e32 v6, 0xbf59a7d5, v11
	v_mul_f32_e32 v88, 0x3f2c7751, v28
	v_add_f32_e32 v5, v6, v5
	v_mov_b32_e32 v6, v88
	v_fmac_f32_e32 v6, 0x3f3d2fb0, v10
	v_mul_f32_e32 v89, 0xbf4c4adb, v30
	v_add_f32_e32 v5, v6, v5
	v_mov_b32_e32 v6, v89
	v_fmac_f32_e32 v6, 0xbf1a4643, v12
	v_mul_f32_e32 v90, 0x3f65296c, v34
	v_add_f32_e32 v5, v6, v5
	v_mov_b32_e32 v6, v90
	v_fmac_f32_e32 v6, 0x3ee437d1, v16
	v_mul_f32_e32 v91, 0xbf763a35, v33
	v_add_f32_e32 v5, v6, v5
	v_mov_b32_e32 v6, v91
	v_fmac_f32_e32 v6, 0xbe8c1d8e, v21
	v_mul_f32_e32 v92, 0x3f7ee86f, v38
	v_add_f32_e32 v6, v6, v5
	v_fma_f32 v5, v36, s4, -v92
	v_mul_f32_e32 v93, 0x3f7ee86f, v37
	v_add_f32_e32 v5, v5, v4
	v_mov_b32_e32 v4, v93
	v_fmac_f32_e32 v4, 0x3dbcf732, v20
	v_mul_f32_e32 v94, 0xbf06c442, v41
	v_add_f32_e32 v4, v4, v6
	v_fma_f32 v6, v9, s8, -v94
	v_mul_f32_e32 v95, 0x3f65296c, v40
	v_add_f32_e32 v6, v6, v1
	v_fma_f32 v7, v24, s1, -v95
	v_mul_f32_e32 v96, 0xbf7ee86f, v27
	v_add_f32_e32 v6, v7, v6
	v_fma_f32 v7, v23, s4, -v96
	v_mul_f32_e32 v97, 0x3f4c4adb, v29
	v_add_f32_e32 v6, v7, v6
	v_fma_f32 v7, v13, s9, -v97
	v_mul_f32_e32 v98, 0xbeb8f4ab, v31
	v_add_f32_e32 v6, v7, v6
	v_fma_f32 v7, v17, s15, -v98
	v_mul_f32_e32 v99, 0xbe3c28d5, v35
	v_add_f32_e32 v6, v7, v6
	v_fma_f32 v7, v22, s16, -v99
	v_mul_f32_e32 v100, 0x3f2c7751, v39
	v_add_f32_e32 v6, v7, v6
	v_fma_f32 v7, v32, s0, -v100
	v_mul_f32_e32 v101, 0xbf06c442, v19
	v_add_f32_e32 v6, v7, v6
	v_mov_b32_e32 v7, v101
	v_mul_f32_e32 v102, 0x3f65296c, v25
	v_fmac_f32_e32 v7, 0xbf59a7d5, v18
	v_mov_b32_e32 v72, v102
	v_add_f32_e32 v7, v7, v0
	v_fmac_f32_e32 v72, 0x3ee437d1, v8
	v_mul_f32_e32 v103, 0xbf7ee86f, v26
	v_add_f32_e32 v7, v72, v7
	v_mov_b32_e32 v72, v103
	v_fmac_f32_e32 v72, 0x3dbcf732, v11
	v_mul_f32_e32 v104, 0x3f4c4adb, v28
	v_add_f32_e32 v7, v72, v7
	v_mov_b32_e32 v72, v104
	v_fmac_f32_e32 v72, 0xbf1a4643, v10
	v_mul_f32_e32 v105, 0xbeb8f4ab, v30
	v_add_f32_e32 v7, v72, v7
	v_mov_b32_e32 v72, v105
	v_fmac_f32_e32 v72, 0x3f6eb680, v12
	v_mul_f32_e32 v106, 0xbe3c28d5, v34
	v_add_f32_e32 v7, v72, v7
	v_mov_b32_e32 v72, v106
	v_fmac_f32_e32 v72, 0xbf7ba420, v16
	v_mul_f32_e32 v107, 0x3f2c7751, v33
	v_add_f32_e32 v7, v72, v7
	v_mov_b32_e32 v72, v107
	v_fmac_f32_e32 v72, 0x3f3d2fb0, v21
	v_mul_f32_e32 v108, 0xbf763a35, v38
	v_add_f32_e32 v72, v72, v7
	v_fma_f32 v7, v36, s5, -v108
	v_mul_f32_e32 v109, 0xbf763a35, v37
	v_add_f32_e32 v7, v7, v6
	v_mov_b32_e32 v6, v109
	v_fmac_f32_e32 v6, 0xbe8c1d8e, v20
	v_mul_f32_e32 v110, 0xbf4c4adb, v41
	v_add_f32_e32 v6, v6, v72
	;; [unrolled: 56-line block ×4, first 2 shown]
	v_fma_f32 v76, v9, s4, -v142
	v_mul_f32_e32 v143, 0xbe3c28d5, v40
	v_add_f32_e32 v76, v76, v1
	v_fma_f32 v77, v24, s16, -v143
	v_mul_f32_e32 v144, 0x3f763a35, v27
	v_add_f32_e32 v76, v77, v76
	;; [unrolled: 3-line block ×7, first 2 shown]
	v_mov_b32_e32 v77, v149
	v_mul_f32_e32 v150, 0xbe3c28d5, v25
	v_fmac_f32_e32 v77, 0x3dbcf732, v18
	v_mov_b32_e32 v151, v150
	v_add_f32_e32 v77, v77, v0
	v_fmac_f32_e32 v151, 0xbf7ba420, v8
	v_add_f32_e32 v77, v151, v77
	v_mul_f32_e32 v151, 0x3f763a35, v26
	v_mov_b32_e32 v152, v151
	v_fmac_f32_e32 v152, 0xbe8c1d8e, v11
	v_add_f32_e32 v77, v152, v77
	v_mul_f32_e32 v152, 0x3eb8f4ab, v28
	v_mov_b32_e32 v153, v152
	;; [unrolled: 4-line block ×5, first 2 shown]
	v_fmac_f32_e32 v156, 0xbf1a4643, v21
	v_mul_f32_e32 v157, 0x3f2c7751, v38
	v_add_f32_e32 v156, v156, v77
	v_fma_f32 v77, v36, s0, -v157
	v_mul_f32_e32 v158, 0x3f2c7751, v37
	v_add_f32_e32 v77, v77, v76
	v_mov_b32_e32 v76, v158
	v_fmac_f32_e32 v76, 0x3f3d2fb0, v20
	v_mul_f32_e32 v41, 0xbf65296c, v41
	v_add_f32_e32 v76, v76, v156
	v_fma_f32 v156, v9, s1, -v41
	v_mul_f32_e32 v159, 0xbf4c4adb, v40
	v_add_f32_e32 v156, v156, v1
	v_fma_f32 v40, v24, s9, -v159
	v_add_f32_e32 v40, v40, v156
	v_mul_f32_e32 v156, 0x3e3c28d5, v27
	v_fma_f32 v27, v23, s16, -v156
	v_mul_f32_e32 v160, 0x3f763a35, v29
	v_add_f32_e32 v27, v27, v40
	v_fma_f32 v29, v13, s5, -v160
	v_mul_f32_e32 v31, 0x3f2c7751, v31
	v_add_f32_e32 v27, v29, v27
	;; [unrolled: 3-line block ×5, first 2 shown]
	v_mov_b32_e32 v29, v19
	v_mul_f32_e32 v162, 0xbf4c4adb, v25
	v_fmac_f32_e32 v29, 0x3ee437d1, v18
	v_mov_b32_e32 v25, v162
	v_mul_f32_e32 v163, 0x3e3c28d5, v26
	v_add_f32_e32 v29, v29, v0
	v_fmac_f32_e32 v25, 0xbf1a4643, v8
	v_mov_b32_e32 v26, v163
	v_add_f32_e32 v25, v25, v29
	v_fmac_f32_e32 v26, 0xbf7ba420, v11
	v_mul_f32_e32 v164, 0x3f763a35, v28
	v_add_f32_e32 v25, v26, v25
	v_mov_b32_e32 v26, v164
	v_fmac_f32_e32 v26, 0xbe8c1d8e, v10
	v_mul_f32_e32 v165, 0x3f2c7751, v30
	v_add_f32_e32 v25, v26, v25
	v_mov_b32_e32 v26, v165
	;; [unrolled: 4-line block ×4, first 2 shown]
	v_fmac_f32_e32 v26, 0x3dbcf732, v21
	v_mul_f32_e32 v168, 0xbf06c442, v38
	v_add_f32_e32 v25, v26, v25
	v_fma_f32 v26, v36, s8, -v168
	v_mul_f32_e32 v169, 0xbf06c442, v37
	v_add_f32_e32 v26, v26, v27
	v_mov_b32_e32 v27, v169
	v_fmac_f32_e32 v27, 0xbf59a7d5, v20
	v_fmac_f32_e32 v78, 0xbf7ba420, v9
	v_add_f32_e32 v25, v27, v25
	v_add_f32_e32 v27, v78, v1
	v_fmac_f32_e32 v79, 0x3f6eb680, v24
	v_fma_f32 v28, v18, s16, -v85
	v_add_f32_e32 v27, v79, v27
	v_fmac_f32_e32 v80, 0xbf59a7d5, v23
	v_add_f32_e32 v28, v28, v0
	v_fma_f32 v29, v8, s15, -v86
	v_add_f32_e32 v27, v80, v27
	v_fmac_f32_e32 v81, 0x3f3d2fb0, v13
	v_add_f32_e32 v28, v29, v28
	v_fma_f32 v29, v11, s8, -v87
	v_add_f32_e32 v27, v81, v27
	v_fmac_f32_e32 v82, 0xbf1a4643, v17
	v_add_f32_e32 v28, v29, v28
	v_fma_f32 v29, v10, s0, -v88
	v_add_f32_e32 v27, v82, v27
	v_fmac_f32_e32 v83, 0x3ee437d1, v22
	v_add_f32_e32 v28, v29, v28
	v_fma_f32 v29, v12, s9, -v89
	v_add_f32_e32 v27, v83, v27
	v_fmac_f32_e32 v84, 0xbe8c1d8e, v32
	v_add_f32_e32 v28, v29, v28
	v_fma_f32 v29, v16, s1, -v90
	v_add_f32_e32 v27, v84, v27
	v_add_f32_e32 v28, v29, v28
	v_fma_f32 v29, v21, s5, -v91
	v_fmac_f32_e32 v92, 0x3dbcf732, v36
	v_add_f32_e32 v29, v29, v28
	v_add_f32_e32 v28, v92, v27
	v_fma_f32 v27, v20, s4, -v93
	v_fmac_f32_e32 v94, 0xbf59a7d5, v9
	v_add_f32_e32 v27, v27, v29
	v_add_f32_e32 v29, v94, v1
	v_fmac_f32_e32 v95, 0x3ee437d1, v24
	v_fma_f32 v30, v18, s8, -v101
	v_add_f32_e32 v29, v95, v29
	v_fmac_f32_e32 v96, 0x3dbcf732, v23
	v_add_f32_e32 v30, v30, v0
	v_fma_f32 v33, v8, s1, -v102
	v_add_f32_e32 v29, v96, v29
	v_fmac_f32_e32 v97, 0xbf1a4643, v13
	v_add_f32_e32 v30, v33, v30
	v_fma_f32 v33, v11, s4, -v103
	v_add_f32_e32 v29, v97, v29
	v_fmac_f32_e32 v98, 0x3f6eb680, v17
	v_add_f32_e32 v30, v33, v30
	v_fma_f32 v33, v10, s9, -v104
	v_add_f32_e32 v29, v98, v29
	v_fmac_f32_e32 v99, 0xbf7ba420, v22
	v_add_f32_e32 v30, v33, v30
	v_fma_f32 v33, v12, s15, -v105
	v_add_f32_e32 v29, v99, v29
	v_fmac_f32_e32 v100, 0x3f3d2fb0, v32
	v_add_f32_e32 v30, v33, v30
	v_fma_f32 v33, v16, s16, -v106
	v_add_f32_e32 v29, v100, v29
	v_add_f32_e32 v30, v33, v30
	v_fma_f32 v33, v21, s0, -v107
	v_fmac_f32_e32 v108, 0xbe8c1d8e, v36
	v_add_f32_e32 v33, v33, v30
	v_add_f32_e32 v30, v108, v29
	v_fma_f32 v29, v20, s5, -v109
	;; [unrolled: 32-line block ×3, first 2 shown]
	v_fmac_f32_e32 v126, 0xbe8c1d8e, v9
	v_add_f32_e32 v33, v33, v37
	v_add_f32_e32 v37, v126, v1
	v_fmac_f32_e32 v127, 0xbf59a7d5, v24
	v_fma_f32 v38, v18, s5, -v133
	v_add_f32_e32 v37, v127, v37
	v_fmac_f32_e32 v128, 0x3f3d2fb0, v23
	v_add_f32_e32 v38, v38, v0
	v_fma_f32 v39, v8, s8, -v134
	v_add_f32_e32 v37, v128, v37
	v_fmac_f32_e32 v129, 0x3ee437d1, v13
	v_add_f32_e32 v38, v39, v38
	;; [unrolled: 4-line block ×3, first 2 shown]
	v_fma_f32 v39, v10, s1, -v136
	v_fmac_f32_e32 v41, 0x3ee437d1, v9
	v_add_f32_e32 v37, v130, v37
	v_fmac_f32_e32 v131, 0x3dbcf732, v22
	v_add_f32_e32 v38, v39, v38
	v_fma_f32 v39, v12, s16, -v137
	v_add_f32_e32 v41, v41, v1
	v_fmac_f32_e32 v159, 0xbf1a4643, v24
	v_add_f32_e32 v37, v131, v37
	v_fmac_f32_e32 v132, 0x3f6eb680, v32
	v_add_f32_e32 v38, v39, v38
	v_fma_f32 v39, v16, s4, -v138
	v_add_f32_e32 v41, v159, v41
	v_fmac_f32_e32 v156, 0xbf7ba420, v23
	v_add_f32_e32 v37, v132, v37
	v_add_f32_e32 v38, v39, v38
	v_fma_f32 v39, v21, s15, -v139
	v_fmac_f32_e32 v140, 0xbf1a4643, v36
	v_add_f32_e32 v41, v156, v41
	v_fmac_f32_e32 v160, 0xbe8c1d8e, v13
	v_add_f32_e32 v39, v39, v38
	v_add_f32_e32 v38, v140, v37
	v_fma_f32 v37, v20, s9, -v141
	v_fmac_f32_e32 v142, 0x3dbcf732, v9
	v_add_f32_e32 v41, v160, v41
	v_fmac_f32_e32 v31, 0x3f3d2fb0, v17
	v_add_f32_e32 v37, v37, v39
	v_add_f32_e32 v39, v142, v1
	v_fmac_f32_e32 v143, 0xbf7ba420, v24
	v_fma_f32 v40, v18, s4, -v149
	v_add_f32_e32 v31, v31, v41
	v_fmac_f32_e32 v35, 0x3f6eb680, v22
	v_fma_f32 v19, v18, s1, -v19
	v_add_f32_e32 v39, v143, v39
	v_fmac_f32_e32 v144, 0xbe8c1d8e, v23
	v_add_f32_e32 v40, v40, v0
	v_fma_f32 v78, v8, s16, -v150
	v_add_f32_e32 v31, v35, v31
	v_add_f32_e32 v19, v19, v0
	v_fma_f32 v35, v8, s9, -v162
	v_add_f32_e32 v39, v144, v39
	v_fmac_f32_e32 v145, 0x3f6eb680, v13
	v_add_f32_e32 v40, v78, v40
	v_fma_f32 v78, v11, s5, -v151
	v_add_f32_e32 v19, v35, v19
	v_fma_f32 v35, v11, s16, -v163
	v_add_f32_e32 v39, v145, v39
	v_fmac_f32_e32 v146, 0x3ee437d1, v17
	v_add_f32_e32 v40, v78, v40
	v_fma_f32 v78, v10, s15, -v152
	;; [unrolled: 6-line block ×4, first 2 shown]
	v_fmac_f32_e32 v161, 0x3dbcf732, v32
	v_add_f32_e32 v19, v35, v19
	v_fma_f32 v35, v16, s15, -v166
	v_add_f32_e32 v39, v148, v39
	v_add_f32_e32 v40, v78, v40
	v_fma_f32 v78, v21, s9, -v155
	v_fmac_f32_e32 v157, 0x3f3d2fb0, v36
	v_add_f32_e32 v31, v161, v31
	v_add_f32_e32 v19, v35, v19
	v_fma_f32 v35, v21, s4, -v167
	v_fmac_f32_e32 v168, 0xbf59a7d5, v36
	v_add_f32_e32 v78, v78, v40
	v_add_f32_e32 v40, v157, v39
	v_fma_f32 v39, v20, s0, -v158
	v_add_f32_e32 v19, v35, v19
	v_add_f32_e32 v79, v168, v31
	v_fma_f32 v31, v20, s8, -v169
	v_fmac_f32_e32 v56, 0x3f3d2fb0, v9
	v_fmac_f32_e32 v14, 0x3f6eb680, v9
	v_add_f32_e32 v39, v39, v78
	v_add_f32_e32 v78, v31, v19
	;; [unrolled: 1-line block ×4, first 2 shown]
	v_fmac_f32_e32 v15, 0x3f3d2fb0, v24
	v_add_f32_e32 v1, v15, v1
	v_fmac_f32_e32 v42, 0x3ee437d1, v23
	v_add_f32_e32 v1, v42, v1
	;; [unrolled: 2-line block ×3, first 2 shown]
	v_fmac_f32_e32 v44, 0xbe8c1d8e, v17
	v_fma_f32 v31, v18, s0, -v63
	v_add_f32_e32 v1, v44, v1
	v_fmac_f32_e32 v45, 0xbf1a4643, v22
	v_add_f32_e32 v31, v31, v0
	v_fma_f32 v35, v8, s4, -v64
	v_fma_f32 v9, v18, s15, -v55
	v_add_f32_e32 v1, v45, v1
	v_fmac_f32_e32 v46, 0xbf59a7d5, v32
	v_fmac_f32_e32 v59, 0xbf7ba420, v13
	v_add_f32_e32 v31, v35, v31
	v_fma_f32 v35, v11, s9, -v65
	v_add_f32_e32 v0, v9, v0
	v_add_f32_e32 v13, v46, v1
	v_fma_f32 v1, v8, s0, -v47
	v_add_f32_e32 v31, v35, v31
	v_fma_f32 v35, v10, s16, -v66
	;; [unrolled: 2-line block ×8, first 2 shown]
	v_add_f32_e32 v8, v1, v0
	v_mad_u64_u32 v[0:1], s[0:1], s2, 24, v[2:3]
	v_fma_f32 v9, v16, s9, -v53
	v_add_f32_e32 v8, v9, v8
	v_fma_f32 v9, v21, s8, -v52
	v_add_f32_e32 v11, v9, v8
	v_mad_u64_u32 v[8:9], s[0:1], s3, 24, v[1:2]
	v_fma_f32 v1, v20, s16, -v54
	v_add_f32_e32 v9, v1, v11
	v_mov_b32_e32 v1, v8
	global_store_dwordx2 v[0:1], v[25:26], off
	v_mad_u64_u32 v[0:1], s[4:5], s2, 40, v[2:3]
	v_fmac_f32_e32 v51, 0xbf7ba420, v36
	s_lshl_b64 s[0:1], s[2:3], 5
	v_add_f32_e32 v10, v51, v13
	v_mov_b32_e32 v8, s1
	v_add_co_u32_e32 v11, vcc, s0, v2
	v_mad_u64_u32 v[13:14], s[0:1], s3, 40, v[1:2]
	v_addc_co_u32_e32 v12, vcc, v3, v8, vcc
	global_store_dwordx2 v[11:12], v[76:77], off
	v_mad_u64_u32 v[11:12], s[0:1], s2, 48, v[2:3]
	v_mov_b32_e32 v1, v13
	v_mad_u64_u32 v[13:14], s[0:1], s2, 56, v[2:3]
	v_mov_b32_e32 v8, v12
	;; [unrolled: 2-line block ×3, first 2 shown]
	v_fmac_f32_e32 v60, 0xbf59a7d5, v17
	v_mad_u64_u32 v[16:17], s[0:1], s3, 56, v[8:9]
	global_store_dwordx2 v[0:1], v[74:75], off
	v_mov_b32_e32 v0, 0x48
	v_mad_u64_u32 v[0:1], s[4:5], s2, v0, v[2:3]
	v_mov_b32_e32 v12, v15
	v_mov_b32_e32 v14, v16
	s_lshl_b64 s[0:1], s[2:3], 6
	global_store_dwordx2 v[11:12], v[72:73], off
	global_store_dwordx2 v[13:14], v[6:7], off
	v_mov_b32_e32 v7, s1
	v_add_co_u32_e32 v6, vcc, s0, v2
	v_addc_co_u32_e32 v7, vcc, v3, v7, vcc
	v_add_u32_e32 v1, s14, v1
	global_store_dwordx2 v[6:7], v[4:5], off
	v_mov_b32_e32 v4, 0x50
	v_mov_b32_e32 v6, 0x58
	global_store_dwordx2 v[0:1], v[27:28], off
	v_mov_b32_e32 v0, 0x60
	v_mad_u64_u32 v[4:5], s[0:1], s2, v4, v[2:3]
	v_mad_u64_u32 v[6:7], s[0:1], s2, v6, v[2:3]
	;; [unrolled: 1-line block ×3, first 2 shown]
	v_fmac_f32_e32 v57, 0x3dbcf732, v24
	v_add_u32_e32 v5, s13, v5
	v_add_u32_e32 v7, s12, v7
	;; [unrolled: 1-line block ×3, first 2 shown]
	v_add_f32_e32 v19, v57, v19
	v_fmac_f32_e32 v58, 0xbf1a4643, v23
	global_store_dwordx2 v[4:5], v[29:30], off
	v_mov_b32_e32 v4, 0x68
	global_store_dwordx2 v[6:7], v[33:34], off
	global_store_dwordx2 v[0:1], v[37:38], off
	v_mov_b32_e32 v0, 0x70
	v_add_f32_e32 v19, v58, v19
	v_mad_u64_u32 v[4:5], s[0:1], s2, v4, v[2:3]
	v_mad_u64_u32 v[0:1], s[0:1], s2, v0, v[2:3]
	v_add_f32_e32 v19, v59, v19
	v_mov_b32_e32 v6, 0x78
	v_add_f32_e32 v19, v60, v19
	v_fmac_f32_e32 v61, 0xbe8c1d8e, v22
	v_mad_u64_u32 v[6:7], s[0:1], s2, v6, v[2:3]
	v_add_f32_e32 v19, v61, v19
	v_fmac_f32_e32 v62, 0x3ee437d1, v32
	v_add_f32_e32 v19, v62, v19
	v_fmac_f32_e32 v70, 0x3f6eb680, v36
	v_add_u32_e32 v5, s10, v5
	v_add_u32_e32 v1, s7, v1
	s_lshl_b64 s[0:1], s[2:3], 7
	v_add_f32_e32 v31, v35, v31
	v_add_f32_e32 v57, v70, v19
	v_fma_f32 v19, v20, s15, -v71
	global_store_dwordx2 v[4:5], v[39:40], off
	global_store_dwordx2 v[0:1], v[78:79], off
	v_mov_b32_e32 v1, s1
	v_add_co_u32_e32 v0, vcc, s0, v2
	v_add_f32_e32 v56, v19, v31
	v_add_u32_e32 v7, s6, v7
	v_addc_co_u32_e32 v1, vcc, v3, v1, vcc
	global_store_dwordx2 v[6:7], v[56:57], off
	global_store_dwordx2 v[0:1], v[9:10], off
	s_endpgm
	.section	.rodata,"a",@progbits
	.p2align	6, 0x0
	.amdhsa_kernel fft_rtc_back_len17_factors_17_wgs_120_tpt_1_sp_ip_CI_sbrr_dirReg
		.amdhsa_group_segment_fixed_size 0
		.amdhsa_private_segment_fixed_size 0
		.amdhsa_kernarg_size 88
		.amdhsa_user_sgpr_count 6
		.amdhsa_user_sgpr_private_segment_buffer 1
		.amdhsa_user_sgpr_dispatch_ptr 0
		.amdhsa_user_sgpr_queue_ptr 0
		.amdhsa_user_sgpr_kernarg_segment_ptr 1
		.amdhsa_user_sgpr_dispatch_id 0
		.amdhsa_user_sgpr_flat_scratch_init 0
		.amdhsa_user_sgpr_private_segment_size 0
		.amdhsa_uses_dynamic_stack 0
		.amdhsa_system_sgpr_private_segment_wavefront_offset 0
		.amdhsa_system_sgpr_workgroup_id_x 1
		.amdhsa_system_sgpr_workgroup_id_y 0
		.amdhsa_system_sgpr_workgroup_id_z 0
		.amdhsa_system_sgpr_workgroup_info 0
		.amdhsa_system_vgpr_workitem_id 0
		.amdhsa_next_free_vgpr 170
		.amdhsa_next_free_sgpr 22
		.amdhsa_reserve_vcc 1
		.amdhsa_reserve_flat_scratch 0
		.amdhsa_float_round_mode_32 0
		.amdhsa_float_round_mode_16_64 0
		.amdhsa_float_denorm_mode_32 3
		.amdhsa_float_denorm_mode_16_64 3
		.amdhsa_dx10_clamp 1
		.amdhsa_ieee_mode 1
		.amdhsa_fp16_overflow 0
		.amdhsa_exception_fp_ieee_invalid_op 0
		.amdhsa_exception_fp_denorm_src 0
		.amdhsa_exception_fp_ieee_div_zero 0
		.amdhsa_exception_fp_ieee_overflow 0
		.amdhsa_exception_fp_ieee_underflow 0
		.amdhsa_exception_fp_ieee_inexact 0
		.amdhsa_exception_int_div_zero 0
	.end_amdhsa_kernel
	.text
.Lfunc_end0:
	.size	fft_rtc_back_len17_factors_17_wgs_120_tpt_1_sp_ip_CI_sbrr_dirReg, .Lfunc_end0-fft_rtc_back_len17_factors_17_wgs_120_tpt_1_sp_ip_CI_sbrr_dirReg
                                        ; -- End function
	.section	.AMDGPU.csdata,"",@progbits
; Kernel info:
; codeLenInByte = 6884
; NumSgprs: 26
; NumVgprs: 170
; ScratchSize: 0
; MemoryBound: 0
; FloatMode: 240
; IeeeMode: 1
; LDSByteSize: 0 bytes/workgroup (compile time only)
; SGPRBlocks: 3
; VGPRBlocks: 42
; NumSGPRsForWavesPerEU: 26
; NumVGPRsForWavesPerEU: 170
; Occupancy: 1
; WaveLimiterHint : 1
; COMPUTE_PGM_RSRC2:SCRATCH_EN: 0
; COMPUTE_PGM_RSRC2:USER_SGPR: 6
; COMPUTE_PGM_RSRC2:TRAP_HANDLER: 0
; COMPUTE_PGM_RSRC2:TGID_X_EN: 1
; COMPUTE_PGM_RSRC2:TGID_Y_EN: 0
; COMPUTE_PGM_RSRC2:TGID_Z_EN: 0
; COMPUTE_PGM_RSRC2:TIDIG_COMP_CNT: 0
	.type	__hip_cuid_2f27f103651039b5,@object ; @__hip_cuid_2f27f103651039b5
	.section	.bss,"aw",@nobits
	.globl	__hip_cuid_2f27f103651039b5
__hip_cuid_2f27f103651039b5:
	.byte	0                               ; 0x0
	.size	__hip_cuid_2f27f103651039b5, 1

	.ident	"AMD clang version 19.0.0git (https://github.com/RadeonOpenCompute/llvm-project roc-6.4.0 25133 c7fe45cf4b819c5991fe208aaa96edf142730f1d)"
	.section	".note.GNU-stack","",@progbits
	.addrsig
	.addrsig_sym __hip_cuid_2f27f103651039b5
	.amdgpu_metadata
---
amdhsa.kernels:
  - .args:
      - .actual_access:  read_only
        .address_space:  global
        .offset:         0
        .size:           8
        .value_kind:     global_buffer
      - .offset:         8
        .size:           8
        .value_kind:     by_value
      - .actual_access:  read_only
        .address_space:  global
        .offset:         16
        .size:           8
        .value_kind:     global_buffer
      - .actual_access:  read_only
        .address_space:  global
        .offset:         24
        .size:           8
        .value_kind:     global_buffer
      - .offset:         32
        .size:           8
        .value_kind:     by_value
      - .actual_access:  read_only
        .address_space:  global
        .offset:         40
        .size:           8
        .value_kind:     global_buffer
      - .actual_access:  read_only
        .address_space:  global
        .offset:         48
        .size:           8
        .value_kind:     global_buffer
      - .offset:         56
        .size:           4
        .value_kind:     by_value
      - .actual_access:  read_only
        .address_space:  global
        .offset:         64
        .size:           8
        .value_kind:     global_buffer
      - .actual_access:  read_only
        .address_space:  global
        .offset:         72
        .size:           8
        .value_kind:     global_buffer
      - .address_space:  global
        .offset:         80
        .size:           8
        .value_kind:     global_buffer
    .group_segment_fixed_size: 0
    .kernarg_segment_align: 8
    .kernarg_segment_size: 88
    .language:       OpenCL C
    .language_version:
      - 2
      - 0
    .max_flat_workgroup_size: 120
    .name:           fft_rtc_back_len17_factors_17_wgs_120_tpt_1_sp_ip_CI_sbrr_dirReg
    .private_segment_fixed_size: 0
    .sgpr_count:     26
    .sgpr_spill_count: 0
    .symbol:         fft_rtc_back_len17_factors_17_wgs_120_tpt_1_sp_ip_CI_sbrr_dirReg.kd
    .uniform_work_group_size: 1
    .uses_dynamic_stack: false
    .vgpr_count:     170
    .vgpr_spill_count: 0
    .wavefront_size: 64
amdhsa.target:   amdgcn-amd-amdhsa--gfx906
amdhsa.version:
  - 1
  - 2
...

	.end_amdgpu_metadata
